;; amdgpu-corpus repo=ROCm/rocFFT kind=compiled arch=gfx1030 opt=O3
	.text
	.amdgcn_target "amdgcn-amd-amdhsa--gfx1030"
	.amdhsa_code_object_version 6
	.protected	fft_rtc_back_len55_factors_5_11_wgs_55_tpt_11_dim1_dp_ip_CI_unitstride_sbrr_dirReg ; -- Begin function fft_rtc_back_len55_factors_5_11_wgs_55_tpt_11_dim1_dp_ip_CI_unitstride_sbrr_dirReg
	.globl	fft_rtc_back_len55_factors_5_11_wgs_55_tpt_11_dim1_dp_ip_CI_unitstride_sbrr_dirReg
	.p2align	8
	.type	fft_rtc_back_len55_factors_5_11_wgs_55_tpt_11_dim1_dp_ip_CI_unitstride_sbrr_dirReg,@function
fft_rtc_back_len55_factors_5_11_wgs_55_tpt_11_dim1_dp_ip_CI_unitstride_sbrr_dirReg: ; @fft_rtc_back_len55_factors_5_11_wgs_55_tpt_11_dim1_dp_ip_CI_unitstride_sbrr_dirReg
; %bb.0:
	s_clause 0x1
	s_load_dwordx4 s[8:11], s[4:5], 0x10
	s_load_dwordx2 s[2:3], s[4:5], 0x48
	v_mul_u32_u24_e32 v1, 0x1746, v0
                                        ; implicit-def: $vgpr6_vgpr7
                                        ; implicit-def: $vgpr18_vgpr19
                                        ; implicit-def: $vgpr10_vgpr11
                                        ; implicit-def: $vgpr14_vgpr15
	v_lshrrev_b32_e32 v1, 16, v1
	v_mad_u64_u32 v[20:21], null, s6, 5, v[1:2]
	v_mul_lo_u16 v1, v1, 11
	v_mov_b32_e32 v21, 0
	v_sub_nc_u16 v0, v0, v1
	s_waitcnt lgkmcnt(0)
	s_load_dwordx2 s[0:1], s[8:9], 0x8
	v_cmp_gt_u64_e32 vcc_lo, s[10:11], v[20:21]
	v_and_b32_e32 v46, 0xffff, v0
	v_lshlrev_b32_e32 v62, 4, v46
	s_waitcnt lgkmcnt(0)
	v_mad_u64_u32 v[2:3], null, s0, v20, 0
	v_mad_u64_u32 v[3:4], null, s1, v20, v[3:4]
	v_lshlrev_b64 v[44:45], 4, v[2:3]
                                        ; implicit-def: $vgpr2_vgpr3
	s_and_saveexec_b32 s1, vcc_lo
; %bb.1:
	v_add_co_u32 v0, s0, s2, v44
	v_add_co_ci_u32_e64 v1, s0, s3, v45, s0
	v_add_co_u32 v0, s0, v0, v62
	v_add_co_ci_u32_e64 v1, s0, 0, v1, s0
	s_clause 0x4
	global_load_dwordx4 v[12:15], v[0:1], off
	global_load_dwordx4 v[8:11], v[0:1], off offset:176
	global_load_dwordx4 v[16:19], v[0:1], off offset:352
	;; [unrolled: 1-line block ×4, first 2 shown]
; %bb.2:
	s_or_b32 exec_lo, exec_lo, s1
	s_waitcnt vmcnt(1)
	v_add_f64 v[21:22], v[4:5], v[16:17]
	s_waitcnt vmcnt(0)
	v_add_f64 v[23:24], v[0:1], v[8:9]
	v_add_f64 v[25:26], v[6:7], v[18:19]
	;; [unrolled: 1-line block ×4, first 2 shown]
	v_add_f64 v[31:32], v[10:11], -v[2:3]
	v_add_f64 v[33:34], v[18:19], -v[6:7]
	v_add_f64 v[35:36], v[10:11], v[14:15]
	v_add_f64 v[37:38], v[8:9], -v[0:1]
	s_mov_b32 s0, 0x134454ff
	s_mov_b32 s1, 0xbfee6f0e
	;; [unrolled: 1-line block ×4, first 2 shown]
	v_add_f64 v[39:40], v[0:1], -v[4:5]
	v_add_f64 v[41:42], v[4:5], -v[0:1]
	;; [unrolled: 1-line block ×6, first 2 shown]
	v_mul_hi_u32 v43, 0xcccccccd, v20
	v_fma_f64 v[21:22], v[21:22], -0.5, v[12:13]
	v_fma_f64 v[12:13], v[23:24], -0.5, v[12:13]
	v_add_f64 v[23:24], v[16:17], -v[4:5]
	v_fma_f64 v[25:26], v[25:26], -0.5, v[14:15]
	v_fma_f64 v[14:15], v[27:28], -0.5, v[14:15]
	v_add_f64 v[27:28], v[8:9], -v[16:17]
	v_add_f64 v[8:9], v[16:17], -v[8:9]
	v_add_f64 v[16:17], v[16:17], v[29:30]
	v_add_f64 v[18:19], v[18:19], v[35:36]
	v_fma_f64 v[29:30], v[31:32], s[0:1], v[21:22]
	v_fma_f64 v[21:22], v[31:32], s[6:7], v[21:22]
	;; [unrolled: 1-line block ×8, first 2 shown]
	s_mov_b32 s0, 0x4755a5e
	s_mov_b32 s1, 0xbfe2cf23
	;; [unrolled: 1-line block ×4, first 2 shown]
	v_add_f64 v[27:28], v[39:40], v[27:28]
	v_add_f64 v[39:40], v[41:42], v[8:9]
	;; [unrolled: 1-line block ×6, first 2 shown]
	v_lshrrev_b32_e32 v16, 2, v43
	v_fma_f64 v[8:9], v[33:34], s[0:1], v[29:30]
	v_fma_f64 v[10:11], v[33:34], s[6:7], v[21:22]
	;; [unrolled: 1-line block ×8, first 2 shown]
	s_mov_b32 s0, 0x372fe950
	s_mov_b32 s1, 0x3fd3c6ef
	v_lshl_add_u32 v25, v16, 2, v16
                                        ; implicit-def: $vgpr34_vgpr35
	v_add_f64 v[0:1], v[0:1], v[4:5]
	v_add_f64 v[2:3], v[2:3], v[6:7]
	v_fma_f64 v[4:5], v[27:28], s[0:1], v[8:9]
	v_fma_f64 v[16:17], v[27:28], s[0:1], v[10:11]
	;; [unrolled: 1-line block ×8, first 2 shown]
	v_sub_nc_u32_e32 v21, v20, v25
	v_mad_u32_u24 v20, 0x50, v46, 0
	v_cmp_gt_u16_e64 s0, 5, v46
                                        ; implicit-def: $vgpr42_vgpr43
                                        ; implicit-def: $vgpr38_vgpr39
                                        ; implicit-def: $vgpr30_vgpr31
                                        ; implicit-def: $vgpr26_vgpr27
	v_mul_u32_u24_e32 v21, 55, v21
	v_lshl_add_u32 v22, v21, 4, v20
	ds_write_b128 v22, v[0:3]
	ds_write_b128 v22, v[4:7] offset:16
	ds_write_b128 v22, v[8:11] offset:32
	;; [unrolled: 1-line block ×4, first 2 shown]
	s_waitcnt lgkmcnt(0)
	s_barrier
	buffer_gl0_inv
                                        ; implicit-def: $vgpr22_vgpr23
	s_and_saveexec_b32 s1, s0
	s_cbranch_execnz .LBB0_5
; %bb.3:
	s_or_b32 exec_lo, exec_lo, s1
	s_and_b32 s0, vcc_lo, s0
	s_and_saveexec_b32 s1, s0
	s_cbranch_execnz .LBB0_6
.LBB0_4:
	s_endpgm
.LBB0_5:
	v_lshlrev_b32_e32 v0, 6, v46
	v_lshlrev_b32_e32 v1, 4, v21
	v_sub_nc_u32_e32 v0, v20, v0
	v_add3_u32 v2, 0, v1, v62
	v_add_nc_u32_e32 v40, v0, v1
	ds_read_b128 v[0:3], v2
	ds_read_b128 v[4:7], v40 offset:80
	ds_read_b128 v[8:11], v40 offset:160
	;; [unrolled: 1-line block ×10, first 2 shown]
	s_or_b32 exec_lo, exec_lo, s1
	s_and_b32 s0, vcc_lo, s0
	s_and_saveexec_b32 s1, s0
	s_cbranch_execz .LBB0_4
.LBB0_6:
	v_and_b32_e32 v47, 0xff, v46
	s_load_dwordx2 s[0:1], s[4:5], 0x0
	s_mov_b32 s16, 0xbb3a28a1
	s_mov_b32 s14, 0xf8bb580b
	;; [unrolled: 1-line block ×3, first 2 shown]
	v_mul_lo_u16 v47, 0xcd, v47
	s_mov_b32 s18, 0x43842ef
	s_mov_b32 s17, 0xbfe82f19
	;; [unrolled: 1-line block ×4, first 2 shown]
	v_lshrrev_b16 v47, 10, v47
	s_mov_b32 s23, 0xbfe14ced
	s_mov_b32 s22, s14
	s_mov_b32 s19, 0xbfefac9e
	s_mov_b32 s11, 0x3fed1bb4
	v_mul_lo_u16 v47, v47, 5
	s_mov_b32 s10, 0x8eee2c13
	s_mov_b32 s25, 0x3fefac9e
	;; [unrolled: 1-line block ×4, first 2 shown]
	v_sub_nc_u16 v46, v46, v47
	s_mov_b32 s26, s20
	s_mov_b32 s6, 0x7f775887
	;; [unrolled: 1-line block ×4, first 2 shown]
	v_mul_lo_u16 v46, v46, 10
	s_mov_b32 s7, 0xbfe4f49e
	s_mov_b32 s9, 0x3feaeb8c
	;; [unrolled: 1-line block ×4, first 2 shown]
	v_and_b32_e32 v46, 0xfe, v46
	s_mov_b32 s5, 0x3fda9628
	v_add_co_u32 v44, vcc_lo, s2, v44
	v_add_co_ci_u32_e32 v45, vcc_lo, s3, v45, vcc_lo
	v_lshlrev_b32_e32 v46, 4, v46
	v_add_co_u32 v44, vcc_lo, v44, v62
	v_add_co_ci_u32_e32 v45, vcc_lo, 0, v45, vcc_lo
	s_waitcnt lgkmcnt(0)
	s_clause 0x9
	global_load_dwordx4 v[48:51], v46, s[0:1] offset:64
	global_load_dwordx4 v[52:55], v46, s[0:1] offset:80
	;; [unrolled: 1-line block ×6, first 2 shown]
	global_load_dwordx4 v[75:78], v46, s[0:1]
	global_load_dwordx4 v[79:82], v46, s[0:1] offset:144
	global_load_dwordx4 v[83:86], v46, s[0:1] offset:16
	;; [unrolled: 1-line block ×3, first 2 shown]
	s_mov_b32 s0, 0x640f44db
	s_mov_b32 s1, 0xbfc2375f
	s_waitcnt vmcnt(9)
	v_mul_f64 v[46:47], v[22:23], v[50:51]
	v_mul_f64 v[50:51], v[20:21], v[50:51]
	s_waitcnt vmcnt(8)
	v_mul_f64 v[60:61], v[26:27], v[54:55]
	v_mul_f64 v[54:55], v[24:25], v[54:55]
	;; [unrolled: 3-line block ×4, first 2 shown]
	v_mul_f64 v[93:94], v[30:31], v[65:66]
	v_mul_f64 v[65:66], v[28:29], v[65:66]
	;; [unrolled: 1-line block ×6, first 2 shown]
	s_waitcnt vmcnt(2)
	v_mul_f64 v[101:102], v[42:43], v[81:82]
	v_mul_f64 v[81:82], v[40:41], v[81:82]
	s_waitcnt vmcnt(1)
	v_mul_f64 v[103:104], v[10:11], v[85:86]
	v_mul_f64 v[85:86], v[8:9], v[85:86]
	;; [unrolled: 3-line block ×3, first 2 shown]
	v_fma_f64 v[46:47], v[20:21], v[48:49], v[46:47]
	v_fma_f64 v[48:49], v[22:23], v[48:49], -v[50:51]
	v_fma_f64 v[20:21], v[24:25], v[52:53], v[60:61]
	v_fma_f64 v[22:23], v[26:27], v[52:53], -v[54:55]
	;; [unrolled: 2-line block ×10, first 2 shown]
	v_add_f64 v[67:68], v[46:47], -v[20:21]
	v_add_f64 v[69:70], v[48:49], -v[22:23]
	v_add_f64 v[60:61], v[48:49], v[22:23]
	v_add_f64 v[81:82], v[0:1], v[50:51]
	;; [unrolled: 1-line block ×3, first 2 shown]
	v_add_f64 v[63:64], v[24:25], -v[16:17]
	v_add_f64 v[65:66], v[26:27], -v[18:19]
	v_add_f64 v[58:59], v[26:27], v[18:19]
	v_add_f64 v[71:72], v[28:29], -v[12:13]
	v_add_f64 v[73:74], v[30:31], -v[14:15]
	;; [unrolled: 1-line block ×4, first 2 shown]
	v_add_f64 v[56:57], v[30:31], v[14:15]
	v_add_f64 v[54:55], v[28:29], v[12:13]
	v_add_f64 v[83:84], v[32:33], -v[8:9]
	v_add_f64 v[40:41], v[34:35], v[10:11]
	v_add_f64 v[85:86], v[34:35], -v[10:11]
	v_add_f64 v[42:43], v[32:33], v[8:9]
	v_add_f64 v[36:37], v[52:53], v[6:7]
	;; [unrolled: 1-line block ×3, first 2 shown]
	v_mul_f64 v[91:92], v[67:68], s[10:11]
	v_mul_f64 v[93:94], v[69:70], s[10:11]
	v_add_f64 v[52:53], v[24:25], v[16:17]
	v_add_f64 v[50:51], v[46:47], v[20:21]
	;; [unrolled: 1-line block ×4, first 2 shown]
	v_mul_f64 v[87:88], v[63:64], s[10:11]
	v_mul_f64 v[89:90], v[65:66], s[10:11]
	;; [unrolled: 1-line block ×14, first 2 shown]
	s_mov_b32 s11, 0xbfed1bb4
	v_mul_f64 v[119:120], v[71:72], s[16:17]
	v_mul_f64 v[121:122], v[73:74], s[16:17]
	;; [unrolled: 1-line block ×5, first 2 shown]
	v_add_f64 v[28:29], v[28:29], v[32:33]
	v_add_f64 v[30:31], v[30:31], v[34:35]
	v_mul_f64 v[137:138], v[65:66], s[20:21]
	v_mul_f64 v[143:144], v[63:64], s[22:23]
	;; [unrolled: 1-line block ×21, first 2 shown]
	v_add_f64 v[26:27], v[26:27], v[30:31]
	v_add_f64 v[24:25], v[24:25], v[28:29]
	v_mul_f64 v[115:116], v[83:84], s[14:15]
	v_mul_f64 v[117:118], v[85:86], s[14:15]
	;; [unrolled: 1-line block ×8, first 2 shown]
	v_fma_f64 v[163:164], v[36:37], s[12:13], v[99:100]
	v_fma_f64 v[99:100], v[36:37], s[12:13], -v[99:100]
	v_fma_f64 v[165:166], v[36:37], s[6:7], v[101:102]
	v_fma_f64 v[101:102], v[36:37], s[6:7], -v[101:102]
	;; [unrolled: 2-line block ×3, first 2 shown]
	v_fma_f64 v[171:172], v[38:39], s[12:13], -v[107:108]
	v_fma_f64 v[177:178], v[38:39], s[8:9], -v[113:114]
	v_fma_f64 v[113:114], v[38:39], s[8:9], v[113:114]
	v_fma_f64 v[167:168], v[36:37], s[0:1], v[103:104]
	v_fma_f64 v[103:104], v[36:37], s[0:1], -v[103:104]
	v_fma_f64 v[107:108], v[38:39], s[12:13], v[107:108]
	v_fma_f64 v[173:174], v[38:39], s[6:7], -v[109:110]
	v_fma_f64 v[175:176], v[38:39], s[0:1], -v[111:112]
	v_fma_f64 v[111:112], v[38:39], s[0:1], v[111:112]
	v_fma_f64 v[109:110], v[38:39], s[6:7], v[109:110]
	;; [unrolled: 1-line block ×3, first 2 shown]
	v_fma_f64 v[185:186], v[54:55], s[6:7], -v[121:122]
	v_fma_f64 v[187:188], v[58:59], s[4:5], v[87:88]
	v_fma_f64 v[189:190], v[52:53], s[4:5], -v[89:90]
	v_fma_f64 v[191:192], v[60:61], s[0:1], v[123:124]
	v_fma_f64 v[193:194], v[50:51], s[0:1], -v[125:126]
	v_fma_f64 v[119:120], v[56:57], s[6:7], -v[119:120]
	v_fma_f64 v[121:122], v[54:55], s[6:7], v[121:122]
	v_fma_f64 v[87:88], v[58:59], s[4:5], -v[87:88]
	v_fma_f64 v[89:90], v[52:53], s[4:5], v[89:90]
	v_fma_f64 v[123:124], v[60:61], s[0:1], -v[123:124]
	v_fma_f64 v[125:126], v[50:51], s[0:1], v[125:126]
	v_fma_f64 v[199:200], v[56:57], s[8:9], v[131:132]
	v_fma_f64 v[201:202], v[54:55], s[8:9], -v[133:134]
	v_fma_f64 v[203:204], v[58:59], s[12:13], v[135:136]
	v_fma_f64 v[205:206], v[52:53], s[12:13], -v[137:138]
	v_fma_f64 v[207:208], v[60:61], s[4:5], v[91:92]
	v_fma_f64 v[209:210], v[50:51], s[4:5], -v[93:94]
	v_fma_f64 v[131:132], v[56:57], s[8:9], -v[131:132]
	v_fma_f64 v[133:134], v[54:55], s[8:9], v[133:134]
	v_fma_f64 v[135:136], v[58:59], s[12:13], -v[135:136]
	v_fma_f64 v[137:138], v[52:53], s[12:13], v[137:138]
	v_fma_f64 v[91:92], v[60:61], s[4:5], -v[91:92]
	v_fma_f64 v[93:94], v[50:51], s[4:5], v[93:94]
	v_fma_f64 v[215:216], v[56:57], s[4:5], v[95:96]
	v_fma_f64 v[217:218], v[54:55], s[4:5], -v[97:98]
	v_fma_f64 v[219:220], v[58:59], s[8:9], v[143:144]
	v_fma_f64 v[221:222], v[52:53], s[8:9], -v[145:146]
	v_fma_f64 v[223:224], v[60:61], s[6:7], v[147:148]
	v_fma_f64 v[225:226], v[50:51], s[6:7], -v[149:150]
	v_fma_f64 v[95:96], v[56:57], s[4:5], -v[95:96]
	v_fma_f64 v[97:98], v[54:55], s[4:5], v[97:98]
	v_fma_f64 v[32:33], v[58:59], s[8:9], -v[143:144]
	v_fma_f64 v[34:35], v[52:53], s[8:9], v[145:146]
	v_fma_f64 v[143:144], v[60:61], s[6:7], -v[147:148]
	v_fma_f64 v[145:146], v[50:51], s[6:7], v[149:150]
	v_fma_f64 v[147:148], v[56:57], s[0:1], v[151:152]
	v_fma_f64 v[149:150], v[54:55], s[0:1], -v[153:154]
	v_fma_f64 v[227:228], v[58:59], s[6:7], v[155:156]
	v_fma_f64 v[229:230], v[52:53], s[6:7], -v[157:158]
	v_fma_f64 v[231:232], v[60:61], s[12:13], v[159:160]
	v_fma_f64 v[233:234], v[50:51], s[12:13], -v[161:162]
	v_fma_f64 v[151:152], v[56:57], s[0:1], -v[151:152]
	v_fma_f64 v[153:154], v[54:55], s[0:1], v[153:154]
	v_fma_f64 v[155:156], v[58:59], s[6:7], -v[155:156]
	v_fma_f64 v[157:158], v[52:53], s[6:7], v[157:158]
	v_fma_f64 v[159:160], v[60:61], s[12:13], -v[159:160]
	v_fma_f64 v[161:162], v[50:51], s[12:13], v[161:162]
	v_fma_f64 v[235:236], v[60:61], s[8:9], v[67:68]
	v_fma_f64 v[60:61], v[60:61], s[8:9], -v[67:68]
	v_fma_f64 v[67:68], v[58:59], s[0:1], v[63:64]
	v_fma_f64 v[58:59], v[58:59], s[0:1], -v[63:64]
	v_fma_f64 v[28:29], v[56:57], s[12:13], v[71:72]
	;; [unrolled: 2-line block ×3, first 2 shown]
	v_fma_f64 v[63:64], v[40:41], s[6:7], -v[79:80]
	v_fma_f64 v[71:72], v[42:43], s[6:7], -v[81:82]
	v_fma_f64 v[79:80], v[42:43], s[6:7], v[81:82]
	v_fma_f64 v[81:82], v[54:55], s[12:13], -v[73:74]
	v_fma_f64 v[54:55], v[54:55], s[12:13], v[73:74]
	;; [unrolled: 2-line block ×4, first 2 shown]
	v_fma_f64 v[69:70], v[36:37], s[4:5], v[75:76]
	v_fma_f64 v[36:37], v[36:37], s[4:5], -v[75:76]
	v_fma_f64 v[75:76], v[38:39], s[4:5], -v[77:78]
	v_fma_f64 v[38:39], v[38:39], s[4:5], v[77:78]
	v_add_f64 v[26:27], v[48:49], v[26:27]
	v_add_f64 v[24:25], v[46:47], v[24:25]
	v_fma_f64 v[179:180], v[40:41], s[8:9], v[115:116]
	v_fma_f64 v[181:182], v[42:43], s[8:9], -v[117:118]
	v_fma_f64 v[115:116], v[40:41], s[8:9], -v[115:116]
	v_fma_f64 v[117:118], v[42:43], s[8:9], v[117:118]
	v_fma_f64 v[195:196], v[40:41], s[0:1], v[127:128]
	v_fma_f64 v[197:198], v[42:43], s[0:1], -v[129:130]
	v_fma_f64 v[127:128], v[40:41], s[0:1], -v[127:128]
	v_fma_f64 v[129:130], v[42:43], s[0:1], v[129:130]
	v_fma_f64 v[211:212], v[40:41], s[12:13], v[139:140]
	v_fma_f64 v[213:214], v[42:43], s[12:13], -v[141:142]
	v_fma_f64 v[139:140], v[40:41], s[12:13], -v[139:140]
	v_fma_f64 v[141:142], v[42:43], s[12:13], v[141:142]
	v_fma_f64 v[77:78], v[40:41], s[4:5], v[83:84]
	v_fma_f64 v[237:238], v[42:43], s[4:5], -v[85:86]
	v_fma_f64 v[40:41], v[40:41], s[4:5], -v[83:84]
	v_fma_f64 v[42:43], v[42:43], s[4:5], v[85:86]
	v_add_f64 v[46:47], v[2:3], v[163:164]
	v_add_f64 v[48:49], v[0:1], v[171:172]
	;; [unrolled: 1-line block ×110, first 2 shown]
	global_store_dwordx4 v[44:45], v[28:31], off offset:80
	global_store_dwordx4 v[44:45], v[24:27], off offset:240
	;; [unrolled: 1-line block ×9, first 2 shown]
	global_store_dwordx4 v[44:45], v[4:7], off
	global_store_dwordx4 v[44:45], v[32:35], off offset:800
	s_endpgm
	.section	.rodata,"a",@progbits
	.p2align	6, 0x0
	.amdhsa_kernel fft_rtc_back_len55_factors_5_11_wgs_55_tpt_11_dim1_dp_ip_CI_unitstride_sbrr_dirReg
		.amdhsa_group_segment_fixed_size 0
		.amdhsa_private_segment_fixed_size 0
		.amdhsa_kernarg_size 80
		.amdhsa_user_sgpr_count 6
		.amdhsa_user_sgpr_private_segment_buffer 1
		.amdhsa_user_sgpr_dispatch_ptr 0
		.amdhsa_user_sgpr_queue_ptr 0
		.amdhsa_user_sgpr_kernarg_segment_ptr 1
		.amdhsa_user_sgpr_dispatch_id 0
		.amdhsa_user_sgpr_flat_scratch_init 0
		.amdhsa_user_sgpr_private_segment_size 0
		.amdhsa_wavefront_size32 1
		.amdhsa_uses_dynamic_stack 0
		.amdhsa_system_sgpr_private_segment_wavefront_offset 0
		.amdhsa_system_sgpr_workgroup_id_x 1
		.amdhsa_system_sgpr_workgroup_id_y 0
		.amdhsa_system_sgpr_workgroup_id_z 0
		.amdhsa_system_sgpr_workgroup_info 0
		.amdhsa_system_vgpr_workitem_id 0
		.amdhsa_next_free_vgpr 239
		.amdhsa_next_free_sgpr 28
		.amdhsa_reserve_vcc 1
		.amdhsa_reserve_flat_scratch 0
		.amdhsa_float_round_mode_32 0
		.amdhsa_float_round_mode_16_64 0
		.amdhsa_float_denorm_mode_32 3
		.amdhsa_float_denorm_mode_16_64 3
		.amdhsa_dx10_clamp 1
		.amdhsa_ieee_mode 1
		.amdhsa_fp16_overflow 0
		.amdhsa_workgroup_processor_mode 1
		.amdhsa_memory_ordered 1
		.amdhsa_forward_progress 0
		.amdhsa_shared_vgpr_count 0
		.amdhsa_exception_fp_ieee_invalid_op 0
		.amdhsa_exception_fp_denorm_src 0
		.amdhsa_exception_fp_ieee_div_zero 0
		.amdhsa_exception_fp_ieee_overflow 0
		.amdhsa_exception_fp_ieee_underflow 0
		.amdhsa_exception_fp_ieee_inexact 0
		.amdhsa_exception_int_div_zero 0
	.end_amdhsa_kernel
	.text
.Lfunc_end0:
	.size	fft_rtc_back_len55_factors_5_11_wgs_55_tpt_11_dim1_dp_ip_CI_unitstride_sbrr_dirReg, .Lfunc_end0-fft_rtc_back_len55_factors_5_11_wgs_55_tpt_11_dim1_dp_ip_CI_unitstride_sbrr_dirReg
                                        ; -- End function
	.section	.AMDGPU.csdata,"",@progbits
; Kernel info:
; codeLenInByte = 4148
; NumSgprs: 30
; NumVgprs: 239
; ScratchSize: 0
; MemoryBound: 1
; FloatMode: 240
; IeeeMode: 1
; LDSByteSize: 0 bytes/workgroup (compile time only)
; SGPRBlocks: 3
; VGPRBlocks: 29
; NumSGPRsForWavesPerEU: 30
; NumVGPRsForWavesPerEU: 239
; Occupancy: 4
; WaveLimiterHint : 1
; COMPUTE_PGM_RSRC2:SCRATCH_EN: 0
; COMPUTE_PGM_RSRC2:USER_SGPR: 6
; COMPUTE_PGM_RSRC2:TRAP_HANDLER: 0
; COMPUTE_PGM_RSRC2:TGID_X_EN: 1
; COMPUTE_PGM_RSRC2:TGID_Y_EN: 0
; COMPUTE_PGM_RSRC2:TGID_Z_EN: 0
; COMPUTE_PGM_RSRC2:TIDIG_COMP_CNT: 0
	.text
	.p2alignl 6, 3214868480
	.fill 48, 4, 3214868480
	.type	__hip_cuid_a028a9e83f6d7f12,@object ; @__hip_cuid_a028a9e83f6d7f12
	.section	.bss,"aw",@nobits
	.globl	__hip_cuid_a028a9e83f6d7f12
__hip_cuid_a028a9e83f6d7f12:
	.byte	0                               ; 0x0
	.size	__hip_cuid_a028a9e83f6d7f12, 1

	.ident	"AMD clang version 19.0.0git (https://github.com/RadeonOpenCompute/llvm-project roc-6.4.0 25133 c7fe45cf4b819c5991fe208aaa96edf142730f1d)"
	.section	".note.GNU-stack","",@progbits
	.addrsig
	.addrsig_sym __hip_cuid_a028a9e83f6d7f12
	.amdgpu_metadata
---
amdhsa.kernels:
  - .args:
      - .actual_access:  read_only
        .address_space:  global
        .offset:         0
        .size:           8
        .value_kind:     global_buffer
      - .actual_access:  read_only
        .address_space:  global
        .offset:         8
        .size:           8
        .value_kind:     global_buffer
      - .actual_access:  read_only
        .address_space:  global
        .offset:         16
        .size:           8
        .value_kind:     global_buffer
      - .offset:         24
        .size:           8
        .value_kind:     by_value
      - .actual_access:  read_only
        .address_space:  global
        .offset:         32
        .size:           8
        .value_kind:     global_buffer
      - .actual_access:  read_only
        .address_space:  global
        .offset:         40
        .size:           8
        .value_kind:     global_buffer
      - .offset:         48
        .size:           4
        .value_kind:     by_value
      - .actual_access:  read_only
        .address_space:  global
        .offset:         56
        .size:           8
        .value_kind:     global_buffer
      - .actual_access:  read_only
        .address_space:  global
        .offset:         64
        .size:           8
        .value_kind:     global_buffer
      - .address_space:  global
        .offset:         72
        .size:           8
        .value_kind:     global_buffer
    .group_segment_fixed_size: 0
    .kernarg_segment_align: 8
    .kernarg_segment_size: 80
    .language:       OpenCL C
    .language_version:
      - 2
      - 0
    .max_flat_workgroup_size: 55
    .name:           fft_rtc_back_len55_factors_5_11_wgs_55_tpt_11_dim1_dp_ip_CI_unitstride_sbrr_dirReg
    .private_segment_fixed_size: 0
    .sgpr_count:     30
    .sgpr_spill_count: 0
    .symbol:         fft_rtc_back_len55_factors_5_11_wgs_55_tpt_11_dim1_dp_ip_CI_unitstride_sbrr_dirReg.kd
    .uniform_work_group_size: 1
    .uses_dynamic_stack: false
    .vgpr_count:     239
    .vgpr_spill_count: 0
    .wavefront_size: 32
    .workgroup_processor_mode: 1
amdhsa.target:   amdgcn-amd-amdhsa--gfx1030
amdhsa.version:
  - 1
  - 2
...

	.end_amdgpu_metadata
